;; amdgpu-corpus repo=triton-lang/triton kind=triton arch=gfx1201 opt=O3 lang=triton
	.amdgcn_target "amdgcn-amd-amdhsa--gfx1201"
	.amdhsa_code_object_version 5
	.text
	.globl	rms_norm_kernel                 ; -- Begin function rms_norm_kernel
	.p2align	8
	.type	rms_norm_kernel,@function
rms_norm_kernel:                        ; @rms_norm_kernel
.Lfunc_begin0:
	.file	1 "/root/src/amdgpu-assembly/repos/triton-lang__triton-aot" "rms_norm.py"
	.loc	1 7 0                           ; rms_norm.py:7:0
	.cfi_sections .debug_frame
	.cfi_startproc
; %bb.0:
	s_clause 0x1
	s_load_b128 s[8:11], s[0:1], 0x10
	s_load_b64 s[2:3], s[0:1], 0x0
.Ltmp0:
	.file	2 "/root/.local/lib/python3.13/site-packages/triton/language" "standard.py"
	.loc	2 293 36 prologue_end           ; standard.py:293:36 @[ rms_norm.py:16:25 ]
	s_bfe_u32 s7, ttmp8, 0x50019
.Ltmp1:
	.loc	1 13 34                         ; rms_norm.py:13:34
	v_and_b32_e32 v4, 31, v0
	s_lshl_b32 s4, s7, 5
	s_delay_alu instid0(SALU_CYCLE_1)
	s_and_b32 s6, s4, 0x60
	s_delay_alu instid0(VALU_DEP_1) | instid1(SALU_CYCLE_1)
	v_or_b32_e32 v6, s6, v4
	v_add_nc_u32_e32 v7, s6, v4
	.loc	1 9 15                          ; rms_norm.py:9:15
	s_wait_kmcnt 0x0
	s_mul_i32 s4, s10, ttmp9
	s_delay_alu instid0(SALU_CYCLE_1) | instskip(NEXT) | instid1(SALU_CYCLE_1)
	.loc	1 9 9 is_stmt 0                 ; rms_norm.py:9:9
	s_ashr_i32 s5, s4, 31
	s_lshl_b64 s[4:5], s[4:5], 2
	.loc	1 12 27 is_stmt 1               ; rms_norm.py:12:27
	s_cmp_gt_i32 s11, 0
	.loc	1 9 9                           ; rms_norm.py:9:9
	s_add_nc_u64 s[12:13], s[2:3], s[4:5]
	.loc	1 12 27                         ; rms_norm.py:12:27
	s_cselect_b32 s6, -1, 0
	s_cmp_lt_i32 s11, 1
	s_mov_b32 s3, 0
	s_cbranch_scc1 .LBB0_20
; %bb.1:                                ; %.lr.ph.preheader
	.loc	1 0 27 is_stmt 0                ; rms_norm.py:0:27
	v_dual_mov_b32 v5, 0 :: v_dual_mov_b32 v8, 0
	v_dual_mov_b32 v9, 0 :: v_dual_mov_b32 v10, 0
	;; [unrolled: 1-line block ×4, first 2 shown]
	s_branch .LBB0_3
.LBB0_2:                                ;   in Loop: Header=BB0_3 Depth=1
	s_wait_alu depctr_sa_sdst(0)
	s_or_b32 exec_lo, exec_lo, s2
	.loc	1 15 18 is_stmt 1               ; rms_norm.py:15:18
	v_dual_add_f32 v5, v5, v15 :: v_dual_add_f32 v8, v8, v17
	v_dual_add_f32 v9, v9, v16 :: v_dual_add_f32 v10, v10, v19
	;; [unrolled: 1-line block ×4, first 2 shown]
	.loc	1 12 27                         ; rms_norm.py:12:27
	s_addk_co_i32 s3, 0x400
	s_wait_alu depctr_sa_sdst(0)
	s_cmp_lt_i32 s3, s11
	s_cbranch_scc0 .LBB0_19
.LBB0_3:                                ; %.lr.ph
                                        ; =>This Inner Loop Header: Depth=1
	.loc	1 13 21                         ; rms_norm.py:13:21
	v_add_nc_u32_e32 v1, s3, v7
	v_mov_b32_e32 v15, 0
	.loc	1 14 20                         ; rms_norm.py:14:20
	s_mov_b32 s2, exec_lo
	s_delay_alu instid0(VALU_DEP_2)
	.loc	1 14 42 is_stmt 0               ; rms_norm.py:14:42
	v_cmpx_gt_i32_e64 s11, v1
	.loc	1 14 20                         ; rms_norm.py:14:20
	s_cbranch_execz .LBB0_5
; %bb.4:                                ;   in Loop: Header=BB0_3 Depth=1
	.loc	1 0 20                          ; rms_norm.py:0:20
	v_ashrrev_i32_e32 v2, 31, v1
	s_delay_alu instid0(VALU_DEP_1) | instskip(NEXT) | instid1(VALU_DEP_1)
	v_lshlrev_b64_e32 v[2:3], 2, v[1:2]
	v_add_co_u32 v2, vcc_lo, s12, v2
	s_wait_alu depctr_va_vcc(0)
	s_delay_alu instid0(VALU_DEP_2)
	v_add_co_ci_u32_e64 v3, null, s13, v3, vcc_lo
	.loc	1 14 20                         ; rms_norm.py:14:20
	global_load_b32 v2, v[2:3], off
	.loc	1 15 22 is_stmt 1               ; rms_norm.py:15:22
	s_wait_loadcnt 0x0
	v_mul_f32_e32 v15, v2, v2
.LBB0_5:                                ;   in Loop: Header=BB0_3 Depth=1
	.loc	1 0 22 is_stmt 0                ; rms_norm.py:0:22
	s_wait_alu depctr_sa_sdst(0)
	s_or_b32 exec_lo, exec_lo, s2
	.loc	1 14 24 is_stmt 1               ; rms_norm.py:14:24
	s_ashr_i32 s2, s3, 31
	v_add_co_u32 v2, s10, s3, v6
	s_wait_alu depctr_sa_sdst(0) depctr_va_sdst(0)
	v_add_co_ci_u32_e64 v3, null, s2, 0, s10
	v_dual_mov_b32 v16, 0 :: v_dual_add_nc_u32 v17, 0x80, v1
	s_delay_alu instid0(VALU_DEP_2) | instskip(NEXT) | instid1(VALU_DEP_2)
	v_lshlrev_b64_e32 v[2:3], 2, v[2:3]
	.loc	1 14 42 is_stmt 0               ; rms_norm.py:14:42
	v_cmp_gt_i32_e32 vcc_lo, s11, v17
	v_mov_b32_e32 v17, 0
	s_delay_alu instid0(VALU_DEP_3) | instskip(SKIP_1) | instid1(VALU_DEP_4)
	.loc	1 14 24                         ; rms_norm.py:14:24
	v_add_co_u32 v2, s2, s12, v2
	s_wait_alu depctr_va_sdst(0)
	v_add_co_ci_u32_e64 v3, null, s13, v3, s2
	.loc	1 14 20                         ; rms_norm.py:14:20
	s_and_saveexec_b32 s2, vcc_lo
	s_cbranch_execz .LBB0_7
; %bb.6:                                ;   in Loop: Header=BB0_3 Depth=1
	global_load_b32 v17, v[2:3], off offset:512
	.loc	1 15 22 is_stmt 1               ; rms_norm.py:15:22
	s_wait_loadcnt 0x0
	v_mul_f32_e32 v17, v17, v17
.LBB0_7:                                ;   in Loop: Header=BB0_3 Depth=1
	.loc	1 0 22 is_stmt 0                ; rms_norm.py:0:22
	s_wait_alu depctr_sa_sdst(0)
	s_or_b32 exec_lo, exec_lo, s2
	.loc	1 13 21 is_stmt 1               ; rms_norm.py:13:21
	v_add_nc_u32_e32 v18, 0x100, v1
	.loc	1 14 20                         ; rms_norm.py:14:20
	s_mov_b32 s2, exec_lo
	s_delay_alu instid0(VALU_DEP_1)
	.loc	1 14 42 is_stmt 0               ; rms_norm.py:14:42
	v_cmpx_gt_i32_e64 s11, v18
	.loc	1 14 20                         ; rms_norm.py:14:20
	s_cbranch_execz .LBB0_9
; %bb.8:                                ;   in Loop: Header=BB0_3 Depth=1
	global_load_b32 v16, v[2:3], off offset:1024
	.loc	1 15 22 is_stmt 1               ; rms_norm.py:15:22
	s_wait_loadcnt 0x0
	v_mul_f32_e32 v16, v16, v16
.LBB0_9:                                ;   in Loop: Header=BB0_3 Depth=1
	.loc	1 0 22 is_stmt 0                ; rms_norm.py:0:22
	s_wait_alu depctr_sa_sdst(0)
	s_or_b32 exec_lo, exec_lo, s2
	v_dual_mov_b32 v18, 0 :: v_dual_add_nc_u32 v19, 0x180, v1
	s_delay_alu instid0(VALU_DEP_1)
	.loc	1 14 42 is_stmt 1               ; rms_norm.py:14:42
	v_cmp_gt_i32_e32 vcc_lo, s11, v19
	v_mov_b32_e32 v19, 0
	.loc	1 14 20 is_stmt 0               ; rms_norm.py:14:20
	s_and_saveexec_b32 s2, vcc_lo
	s_cbranch_execz .LBB0_11
; %bb.10:                               ;   in Loop: Header=BB0_3 Depth=1
	global_load_b32 v19, v[2:3], off offset:1536
	.loc	1 15 22 is_stmt 1               ; rms_norm.py:15:22
	s_wait_loadcnt 0x0
	v_mul_f32_e32 v19, v19, v19
.LBB0_11:                               ;   in Loop: Header=BB0_3 Depth=1
	.loc	1 0 22 is_stmt 0                ; rms_norm.py:0:22
	s_wait_alu depctr_sa_sdst(0)
	s_or_b32 exec_lo, exec_lo, s2
	.loc	1 13 21 is_stmt 1               ; rms_norm.py:13:21
	v_add_nc_u32_e32 v20, 0x200, v1
	.loc	1 14 20                         ; rms_norm.py:14:20
	s_mov_b32 s2, exec_lo
	s_delay_alu instid0(VALU_DEP_1)
	.loc	1 14 42 is_stmt 0               ; rms_norm.py:14:42
	v_cmpx_gt_i32_e64 s11, v20
	.loc	1 14 20                         ; rms_norm.py:14:20
	s_cbranch_execz .LBB0_13
; %bb.12:                               ;   in Loop: Header=BB0_3 Depth=1
	global_load_b32 v18, v[2:3], off offset:2048
	.loc	1 15 22 is_stmt 1               ; rms_norm.py:15:22
	s_wait_loadcnt 0x0
	v_mul_f32_e32 v18, v18, v18
.LBB0_13:                               ;   in Loop: Header=BB0_3 Depth=1
	.loc	1 0 22 is_stmt 0                ; rms_norm.py:0:22
	s_wait_alu depctr_sa_sdst(0)
	s_or_b32 exec_lo, exec_lo, s2
	v_dual_mov_b32 v20, 0 :: v_dual_add_nc_u32 v21, 0x280, v1
	s_delay_alu instid0(VALU_DEP_1)
	.loc	1 14 42 is_stmt 1               ; rms_norm.py:14:42
	v_cmp_gt_i32_e32 vcc_lo, s11, v21
	v_mov_b32_e32 v21, 0
	.loc	1 14 20 is_stmt 0               ; rms_norm.py:14:20
	s_and_saveexec_b32 s2, vcc_lo
	s_cbranch_execz .LBB0_15
; %bb.14:                               ;   in Loop: Header=BB0_3 Depth=1
	global_load_b32 v21, v[2:3], off offset:2560
	.loc	1 15 22 is_stmt 1               ; rms_norm.py:15:22
	s_wait_loadcnt 0x0
	v_mul_f32_e32 v21, v21, v21
.LBB0_15:                               ;   in Loop: Header=BB0_3 Depth=1
	.loc	1 0 22 is_stmt 0                ; rms_norm.py:0:22
	s_wait_alu depctr_sa_sdst(0)
	s_or_b32 exec_lo, exec_lo, s2
	.loc	1 13 21 is_stmt 1               ; rms_norm.py:13:21
	v_add_nc_u32_e32 v22, 0x300, v1
	.loc	1 14 20                         ; rms_norm.py:14:20
	s_mov_b32 s2, exec_lo
	s_delay_alu instid0(VALU_DEP_1)
	.loc	1 14 42 is_stmt 0               ; rms_norm.py:14:42
	v_cmpx_gt_i32_e64 s11, v22
	.loc	1 14 20                         ; rms_norm.py:14:20
	s_cbranch_execz .LBB0_17
; %bb.16:                               ;   in Loop: Header=BB0_3 Depth=1
	global_load_b32 v20, v[2:3], off offset:3072
	.loc	1 15 22 is_stmt 1               ; rms_norm.py:15:22
	s_wait_loadcnt 0x0
	v_mul_f32_e32 v20, v20, v20
.LBB0_17:                               ;   in Loop: Header=BB0_3 Depth=1
	.loc	1 0 22 is_stmt 0                ; rms_norm.py:0:22
	s_wait_alu depctr_sa_sdst(0)
	s_or_b32 exec_lo, exec_lo, s2
	.loc	1 14 42 is_stmt 1               ; rms_norm.py:14:42
	v_add_nc_u32_e32 v1, 0x380, v1
	s_delay_alu instid0(VALU_DEP_1)
	v_cmp_gt_i32_e32 vcc_lo, s11, v1
	v_mov_b32_e32 v1, 0
	.loc	1 14 20 is_stmt 0               ; rms_norm.py:14:20
	s_and_saveexec_b32 s2, vcc_lo
	s_cbranch_execz .LBB0_2
; %bb.18:                               ;   in Loop: Header=BB0_3 Depth=1
	global_load_b32 v1, v[2:3], off offset:3584
	.loc	1 15 22 is_stmt 1               ; rms_norm.py:15:22
	s_wait_loadcnt 0x0
	v_mul_f32_e32 v1, v1, v1
	s_branch .LBB0_2
.LBB0_19:                               ; %._crit_edge.loopexit
.Ltmp2:
	.loc	2 263 15                        ; standard.py:263:15 @[ standard.py:293:36 @[ rms_norm.py:16:25 ] ]
	v_add_f32_e32 v1, v5, v8
	s_delay_alu instid0(VALU_DEP_1) | instskip(NEXT) | instid1(VALU_DEP_1)
	v_add_f32_e32 v1, v9, v1
	v_add_f32_e32 v1, v10, v1
	s_delay_alu instid0(VALU_DEP_1) | instskip(NEXT) | instid1(VALU_DEP_1)
	v_add_f32_e32 v1, v11, v1
	;; [unrolled: 3-line block ×3, first 2 shown]
	v_add_f32_e32 v1, v14, v1
	s_branch .LBB0_21
.LBB0_20:
	.loc	2 0 15 is_stmt 0                ; standard.py:0:15
	v_mov_b32_e32 v1, 0
.LBB0_21:                               ; %Flow36
	s_delay_alu instid0(VALU_DEP_1)
	.loc	2 263 15 is_stmt 1              ; standard.py:263:15 @[ standard.py:293:36 @[ rms_norm.py:16:25 ] ]
	v_add_f32_dpp v1, v1, v1 row_shr:8 row_mask:0xf bank_mask:0xf bound_ctrl:1
	s_clause 0x1
	s_load_b64 s[2:3], s[0:1], 0x8
	s_load_b32 s1, s[0:1], 0x20
.Ltmp3:
	.loc	2 293 36                        ; standard.py:293:36 @[ rms_norm.py:16:25 ]
	s_mov_b32 s0, exec_lo
.Ltmp4:
	.loc	2 263 15                        ; standard.py:263:15 @[ standard.py:293:36 @[ rms_norm.py:16:25 ] ]
	v_add_f32_dpp v1, v1, v1 row_shr:4 row_mask:0xf bank_mask:0xf bound_ctrl:1
	s_delay_alu instid0(VALU_DEP_1) | instskip(NEXT) | instid1(VALU_DEP_1)
	v_add_f32_dpp v1, v1, v1 row_shr:2 row_mask:0xf bank_mask:0xf bound_ctrl:1
	v_add_f32_dpp v1, v1, v1 row_shr:1 row_mask:0xf bank_mask:0xf bound_ctrl:1
	s_delay_alu instid0(VALU_DEP_1) | instskip(NEXT) | instid1(VALU_DEP_1)
.Ltmp5:
	.loc	2 293 36                        ; standard.py:293:36 @[ rms_norm.py:16:25 ]
	v_permlanex16_b32 v2, v1, -1, -1 op_sel:[1,0]
.Ltmp6:
	.loc	2 263 15                        ; standard.py:263:15 @[ standard.py:293:36 @[ rms_norm.py:16:25 ] ]
	v_add_f32_e32 v1, v1, v2
	s_delay_alu instid0(VALU_DEP_1)
.Ltmp7:
	.loc	2 293 36                        ; standard.py:293:36 @[ rms_norm.py:16:25 ]
	v_readlane_b32 s10, v1, 31
	v_cmpx_eq_u32_e32 0, v4
	s_cbranch_execz .LBB0_23
; %bb.22:
	.loc	2 0 36 is_stmt 0                ; standard.py:0:36
	s_and_b32 s7, s7, 3
	.loc	2 293 36                        ; standard.py:293:36 @[ rms_norm.py:16:25 ]
	v_mov_b32_e32 v2, s10
	s_wait_alu depctr_sa_sdst(0)
	s_lshl2_add_u32 s7, s7, 0
	s_wait_alu depctr_sa_sdst(0)
	v_mov_b32_e32 v1, s7
	ds_store_b32 v1, v2
.LBB0_23:
	.loc	2 0 36                          ; standard.py:0:36
	s_or_b32 exec_lo, exec_lo, s0
	.loc	2 293 36                        ; standard.py:293:36 @[ rms_norm.py:16:25 ]
	s_wait_dscnt 0x0
	s_barrier_signal -1
	v_cmp_gt_u32_e32 vcc_lo, 4, v0
	v_lshl_add_u32 v1, v0, 2, 0
	v_mov_b32_e32 v2, 0
	s_barrier_wait -1
	global_inv scope:SCOPE_SE
	s_and_saveexec_b32 s0, vcc_lo
; %bb.24:
	ds_load_b32 v2, v1
; %bb.25:
	.loc	2 0 36                          ; standard.py:0:36
	s_or_b32 exec_lo, exec_lo, s0
	.loc	2 293 36                        ; standard.py:293:36 @[ rms_norm.py:16:25 ]
	s_wait_dscnt 0x0
	v_mov_b32_e32 v3, v2
	s_delay_alu instid0(VALU_DEP_1) | instskip(NEXT) | instid1(VALU_DEP_1)
	v_mov_b32_dpp v3, v3 quad_perm:[2,3,0,1] row_mask:0xf bank_mask:0xf
.Ltmp8:
	.loc	2 263 15 is_stmt 1              ; standard.py:263:15 @[ standard.py:293:36 @[ rms_norm.py:16:25 ] ]
	v_dual_add_f32 v2, v2, v3 :: v_dual_and_b32 v3, 3, v0
	s_delay_alu instid0(VALU_DEP_1) | instskip(NEXT) | instid1(VALU_DEP_2)
.Ltmp9:
	.loc	2 293 36                        ; standard.py:293:36 @[ rms_norm.py:16:25 ]
	v_mov_b32_e32 v0, v2
	v_cmp_eq_u32_e64 s0, 0, v3
	s_delay_alu instid0(VALU_DEP_2)
	v_mov_b32_dpp v0, v0 quad_perm:[1,0,3,2] row_mask:0xf bank_mask:0xf
	s_and_b32 s7, vcc_lo, s0
	s_wait_alu depctr_sa_sdst(0)
	s_and_saveexec_b32 s0, s7
; %bb.26:
	.loc	2 0 36 is_stmt 0                ; standard.py:0:36
	s_delay_alu instid0(VALU_DEP_1)
	v_add_f32_e32 v0, v2, v0
	.loc	2 293 36                        ; standard.py:293:36 @[ rms_norm.py:16:25 ]
	ds_store_b32 v1, v0
; %bb.27:
	.loc	2 0 36                          ; standard.py:0:36
	s_or_b32 exec_lo, exec_lo, s0
	.loc	2 293 36                        ; standard.py:293:36 @[ rms_norm.py:16:25 ]
	s_wait_loadcnt_dscnt 0x0
	s_barrier_signal -1
.Ltmp10:
	.loc	1 17 27 is_stmt 1               ; rms_norm.py:17:27
	s_and_not1_b32 vcc_lo, exec_lo, s6
.Ltmp11:
	.loc	2 293 36                        ; standard.py:293:36 @[ rms_norm.py:16:25 ]
	s_barrier_wait -1
	global_inv scope:SCOPE_SE
	s_wait_alu depctr_sa_sdst(0)
	s_cbranch_vccnz .LBB0_78
; %bb.28:                               ; %.lr.ph4.preheader
	v_mov_b32_e32 v0, 0
.Ltmp12:
	.loc	1 16 43                         ; rms_norm.py:16:43
	s_cvt_f32_i32 s0, s11
.Ltmp13:
	.loc	2 293 36                        ; standard.py:293:36 @[ rms_norm.py:16:25 ]
	s_mov_b32 s10, 0
.Ltmp14:
	.loc	1 10 9                          ; rms_norm.py:10:9
	s_wait_kmcnt 0x0
	s_add_nc_u64 s[14:15], s[2:3], s[4:5]
.Ltmp15:
	.loc	2 293 36                        ; standard.py:293:36 @[ rms_norm.py:16:25 ]
	ds_load_b32 v0, v0
.Ltmp16:
	.loc	1 16 43                         ; rms_norm.py:16:43
	s_wait_dscnt 0x0
	v_div_scale_f32 v1, null, s0, s0, v0
	s_delay_alu instid0(VALU_DEP_1)
	v_rcp_f32_e32 v2, v1
	v_xor_b32_e32 v1, 0x80000000, v1
	s_delay_alu instid0(TRANS32_DEP_1) | instid1(VALU_DEP_1)
	v_fma_f32 v3, v1, v2, 1.0
	s_delay_alu instid0(VALU_DEP_1) | instskip(SKIP_1) | instid1(VALU_DEP_1)
	v_fmac_f32_e32 v2, v3, v2
	v_div_scale_f32 v3, vcc_lo, v0, s0, v0
	v_mul_f32_e32 v4, v3, v2
	s_delay_alu instid0(VALU_DEP_1) | instskip(NEXT) | instid1(VALU_DEP_1)
	v_fma_f32 v5, v1, v4, v3
	v_fmac_f32_e32 v4, v5, v2
	s_delay_alu instid0(VALU_DEP_1) | instskip(SKIP_1) | instid1(VALU_DEP_1)
	v_fmac_f32_e32 v3, v1, v4
	s_wait_alu depctr_va_vcc(0)
	v_div_fmas_f32 v1, v3, v2, v4
	s_delay_alu instid0(VALU_DEP_1) | instskip(NEXT) | instid1(VALU_DEP_1)
	v_div_fixup_f32 v0, v1, s0, v0
	.loc	1 16 47 is_stmt 0               ; rms_norm.py:16:47
	v_add_f32_e32 v0, s1, v0
	s_delay_alu instid0(VALU_DEP_1)
	.loc	1 16 18                         ; rms_norm.py:16:18
	v_sqrt_f32_e32 v8, v0
	s_branch .LBB0_30
.LBB0_29:                               ;   in Loop: Header=BB0_30 Depth=1
	.loc	1 0 18                          ; rms_norm.py:0:18
	s_wait_alu depctr_sa_sdst(0)
	s_or_b32 exec_lo, exec_lo, s1
	.loc	1 17 27 is_stmt 1               ; rms_norm.py:17:27
	s_addk_co_i32 s10, 0x400
	s_wait_alu depctr_sa_sdst(0)
	s_cmp_lt_i32 s10, s11
	s_cbranch_scc0 .LBB0_78
.LBB0_30:                               ; %.lr.ph4
                                        ; =>This Inner Loop Header: Depth=1
	.loc	1 18 21                         ; rms_norm.py:18:21
	s_wait_alu depctr_sa_sdst(0)
	v_add_nc_u32_e32 v0, s10, v7
	s_wait_loadcnt 0x0
	v_mov_b32_e32 v16, 0
	s_delay_alu instid0(VALU_DEP_2)
	.loc	1 19 22                         ; rms_norm.py:19:22
	v_cmp_gt_i32_e32 vcc_lo, s11, v0
	.loc	1 20 20                         ; rms_norm.py:20:20
	s_and_saveexec_b32 s1, vcc_lo
	s_cbranch_execz .LBB0_32
; %bb.31:                               ;   in Loop: Header=BB0_30 Depth=1
	.loc	1 0 20 is_stmt 0                ; rms_norm.py:0:20
	v_ashrrev_i32_e32 v1, 31, v0
	s_delay_alu instid0(VALU_DEP_1) | instskip(NEXT) | instid1(VALU_DEP_1)
	v_lshlrev_b64_e32 v[1:2], 2, v[0:1]
	v_add_co_u32 v1, s0, s12, v1
	s_wait_alu depctr_va_sdst(0)
	s_delay_alu instid0(VALU_DEP_2)
	v_add_co_ci_u32_e64 v2, null, s13, v2, s0
	.loc	1 20 20                         ; rms_norm.py:20:20
	global_load_b32 v16, v[1:2], off
.LBB0_32:                               ;   in Loop: Header=BB0_30 Depth=1
	.loc	1 0 20                          ; rms_norm.py:0:20
	s_wait_alu depctr_sa_sdst(0)
	s_or_b32 exec_lo, exec_lo, s1
	.loc	1 20 24                         ; rms_norm.py:20:24
	s_ashr_i32 s0, s10, 31
	v_add_co_u32 v1, s1, s10, v6
	s_wait_alu depctr_sa_sdst(0) depctr_va_sdst(0)
	v_add_co_ci_u32_e64 v2, null, s0, 0, s1
	v_dual_mov_b32 v13, 0 :: v_dual_add_nc_u32 v4, 0x80, v0
	v_mov_b32_e32 v15, 0
	s_delay_alu instid0(VALU_DEP_3) | instskip(NEXT) | instid1(VALU_DEP_3)
	v_lshlrev_b64_e32 v[2:3], 2, v[1:2]
	.loc	1 19 22 is_stmt 1               ; rms_norm.py:19:22
	v_cmp_gt_i32_e64 s6, s11, v4
	s_delay_alu instid0(VALU_DEP_2) | instskip(SKIP_1) | instid1(VALU_DEP_3)
	.loc	1 20 24                         ; rms_norm.py:20:24
	v_add_co_u32 v4, s0, s12, v2
	s_wait_alu depctr_va_sdst(0)
	v_add_co_ci_u32_e64 v5, null, s13, v3, s0
	.loc	1 20 20 is_stmt 0               ; rms_norm.py:20:20
	s_and_saveexec_b32 s0, s6
	s_cbranch_execz .LBB0_34
; %bb.33:                               ;   in Loop: Header=BB0_30 Depth=1
	global_load_b32 v15, v[4:5], off offset:512
.LBB0_34:                               ;   in Loop: Header=BB0_30 Depth=1
	.loc	1 0 20                          ; rms_norm.py:0:20
	s_wait_alu depctr_sa_sdst(0)
	s_or_b32 exec_lo, exec_lo, s0
	.loc	1 18 21 is_stmt 1               ; rms_norm.py:18:21
	v_add_nc_u32_e32 v1, 0x100, v0
	s_delay_alu instid0(VALU_DEP_1)
	.loc	1 19 22                         ; rms_norm.py:19:22
	v_cmp_gt_i32_e64 s5, s11, v1
	.loc	1 20 20                         ; rms_norm.py:20:20
	s_and_saveexec_b32 s0, s5
	s_cbranch_execz .LBB0_36
; %bb.35:                               ;   in Loop: Header=BB0_30 Depth=1
	global_load_b32 v13, v[4:5], off offset:1024
.LBB0_36:                               ;   in Loop: Header=BB0_30 Depth=1
	.loc	1 0 20 is_stmt 0                ; rms_norm.py:0:20
	s_wait_alu depctr_sa_sdst(0)
	s_or_b32 exec_lo, exec_lo, s0
	v_dual_mov_b32 v14, 0 :: v_dual_add_nc_u32 v1, 0x180, v0
	v_mov_b32_e32 v11, 0
	s_delay_alu instid0(VALU_DEP_2)
	.loc	1 19 22 is_stmt 1               ; rms_norm.py:19:22
	v_cmp_gt_i32_e64 s4, s11, v1
	.loc	1 20 20                         ; rms_norm.py:20:20
	s_and_saveexec_b32 s0, s4
	s_cbranch_execz .LBB0_38
; %bb.37:                               ;   in Loop: Header=BB0_30 Depth=1
	global_load_b32 v14, v[4:5], off offset:1536
.LBB0_38:                               ;   in Loop: Header=BB0_30 Depth=1
	.loc	1 0 20 is_stmt 0                ; rms_norm.py:0:20
	s_wait_alu depctr_sa_sdst(0)
	s_or_b32 exec_lo, exec_lo, s0
	.loc	1 18 21 is_stmt 1               ; rms_norm.py:18:21
	v_add_nc_u32_e32 v1, 0x200, v0
	s_delay_alu instid0(VALU_DEP_1)
	.loc	1 19 22                         ; rms_norm.py:19:22
	v_cmp_gt_i32_e64 s3, s11, v1
	.loc	1 20 20                         ; rms_norm.py:20:20
	s_and_saveexec_b32 s0, s3
	s_cbranch_execz .LBB0_40
; %bb.39:                               ;   in Loop: Header=BB0_30 Depth=1
	global_load_b32 v11, v[4:5], off offset:2048
.LBB0_40:                               ;   in Loop: Header=BB0_30 Depth=1
	.loc	1 0 20 is_stmt 0                ; rms_norm.py:0:20
	s_wait_alu depctr_sa_sdst(0)
	s_or_b32 exec_lo, exec_lo, s0
	v_dual_mov_b32 v12, 0 :: v_dual_add_nc_u32 v1, 0x280, v0
	v_mov_b32_e32 v9, 0
	s_delay_alu instid0(VALU_DEP_2)
	.loc	1 19 22 is_stmt 1               ; rms_norm.py:19:22
	v_cmp_gt_i32_e64 s2, s11, v1
	.loc	1 20 20                         ; rms_norm.py:20:20
	s_and_saveexec_b32 s0, s2
	s_cbranch_execz .LBB0_42
; %bb.41:                               ;   in Loop: Header=BB0_30 Depth=1
	global_load_b32 v12, v[4:5], off offset:2560
.LBB0_42:                               ;   in Loop: Header=BB0_30 Depth=1
	.loc	1 0 20 is_stmt 0                ; rms_norm.py:0:20
	;; [unrolled: 28-line block ×3, first 2 shown]
	s_wait_alu depctr_sa_sdst(0)
	s_or_b32 exec_lo, exec_lo, s7
	.loc	1 21 20 is_stmt 1               ; rms_norm.py:21:20
	s_and_saveexec_b32 s16, vcc_lo
	s_cbranch_execz .LBB0_48
; %bb.47:                               ;   in Loop: Header=BB0_30 Depth=1
	.loc	1 0 20 is_stmt 0                ; rms_norm.py:0:20
	v_ashrrev_i32_e32 v1, 31, v0
	s_delay_alu instid0(VALU_DEP_1) | instskip(NEXT) | instid1(VALU_DEP_1)
	v_lshlrev_b64_e32 v[4:5], 2, v[0:1]
	v_add_co_u32 v4, s7, s8, v4
	s_wait_alu depctr_va_sdst(0)
	s_delay_alu instid0(VALU_DEP_2)
	v_add_co_ci_u32_e64 v5, null, s9, v5, s7
	.loc	1 21 20                         ; rms_norm.py:21:20
	global_load_b32 v24, v[4:5], off
.LBB0_48:                               ;   in Loop: Header=BB0_30 Depth=1
	.loc	1 0 20                          ; rms_norm.py:0:20
	s_or_b32 exec_lo, exec_lo, s16
	.loc	1 21 24                         ; rms_norm.py:21:24
	v_add_co_u32 v4, s7, s8, v2
	s_wait_alu depctr_va_sdst(0)
	v_add_co_ci_u32_e64 v5, null, s9, v3, s7
	v_mov_b32_e32 v21, 0
	v_mov_b32_e32 v23, 0
	.loc	1 21 20                         ; rms_norm.py:21:20
	s_and_saveexec_b32 s7, s6
	s_cbranch_execz .LBB0_50
; %bb.49:                               ;   in Loop: Header=BB0_30 Depth=1
	global_load_b32 v23, v[4:5], off offset:512
.LBB0_50:                               ;   in Loop: Header=BB0_30 Depth=1
	.loc	1 0 20                          ; rms_norm.py:0:20
	s_wait_alu depctr_sa_sdst(0)
	s_or_b32 exec_lo, exec_lo, s7
	.loc	1 21 20                         ; rms_norm.py:21:20
	s_and_saveexec_b32 s7, s5
	s_cbranch_execz .LBB0_52
; %bb.51:                               ;   in Loop: Header=BB0_30 Depth=1
	global_load_b32 v21, v[4:5], off offset:1024
.LBB0_52:                               ;   in Loop: Header=BB0_30 Depth=1
	.loc	1 0 20                          ; rms_norm.py:0:20
	s_wait_alu depctr_sa_sdst(0)
	s_or_b32 exec_lo, exec_lo, s7
	v_dual_mov_b32 v19, 0 :: v_dual_mov_b32 v22, 0
	.loc	1 21 20                         ; rms_norm.py:21:20
	s_and_saveexec_b32 s7, s4
	s_cbranch_execz .LBB0_54
; %bb.53:                               ;   in Loop: Header=BB0_30 Depth=1
	global_load_b32 v22, v[4:5], off offset:1536
.LBB0_54:                               ;   in Loop: Header=BB0_30 Depth=1
	.loc	1 0 20                          ; rms_norm.py:0:20
	s_wait_alu depctr_sa_sdst(0)
	s_or_b32 exec_lo, exec_lo, s7
	.loc	1 21 20                         ; rms_norm.py:21:20
	s_and_saveexec_b32 s7, s3
	s_cbranch_execz .LBB0_56
; %bb.55:                               ;   in Loop: Header=BB0_30 Depth=1
	global_load_b32 v19, v[4:5], off offset:2048
.LBB0_56:                               ;   in Loop: Header=BB0_30 Depth=1
	.loc	1 0 20                          ; rms_norm.py:0:20
	s_wait_alu depctr_sa_sdst(0)
	s_or_b32 exec_lo, exec_lo, s7
	v_dual_mov_b32 v17, 0 :: v_dual_mov_b32 v20, 0
	.loc	1 21 20                         ; rms_norm.py:21:20
	s_and_saveexec_b32 s7, s2
	s_cbranch_execnz .LBB0_68
; %bb.57:                               ;   in Loop: Header=BB0_30 Depth=1
	.loc	1 0 20                          ; rms_norm.py:0:20
	s_wait_alu depctr_sa_sdst(0)
	s_or_b32 exec_lo, exec_lo, s7
	.loc	1 21 20                         ; rms_norm.py:21:20
	s_and_saveexec_b32 s7, s1
	s_cbranch_execnz .LBB0_69
.LBB0_58:                               ;   in Loop: Header=BB0_30 Depth=1
	.loc	1 0 20                          ; rms_norm.py:0:20
	s_wait_alu depctr_sa_sdst(0)
	s_or_b32 exec_lo, exec_lo, s7
	v_mov_b32_e32 v18, 0
	.loc	1 21 20                         ; rms_norm.py:21:20
	s_and_saveexec_b32 s7, s0
	s_cbranch_execnz .LBB0_70
.LBB0_59:                               ;   in Loop: Header=BB0_30 Depth=1
	.loc	1 0 20                          ; rms_norm.py:0:20
	s_wait_alu depctr_sa_sdst(0)
	s_or_b32 exec_lo, exec_lo, s7
	.loc	1 23 27 is_stmt 1               ; rms_norm.py:23:27
	s_and_saveexec_b32 s7, vcc_lo
	s_cbranch_execz .LBB0_61
.LBB0_60:                               ;   in Loop: Header=BB0_30 Depth=1
	.loc	1 22 16                         ; rms_norm.py:22:16
	s_wait_loadcnt 0x0
	v_div_scale_f32 v1, null, v8, v8, v16
	v_div_scale_f32 v25, vcc_lo, v16, v8, v16
	s_delay_alu instid0(VALU_DEP_2) | instskip(NEXT) | instid1(TRANS32_DEP_1)
	v_rcp_f32_e32 v4, v1
	v_fma_f32 v5, -v1, v4, 1.0
	s_delay_alu instid0(VALU_DEP_1) | instskip(NEXT) | instid1(VALU_DEP_1)
	v_fmac_f32_e32 v4, v5, v4
	v_mul_f32_e32 v5, v25, v4
	s_delay_alu instid0(VALU_DEP_1) | instskip(NEXT) | instid1(VALU_DEP_1)
	v_fma_f32 v26, -v1, v5, v25
	v_fmac_f32_e32 v5, v26, v4
	s_delay_alu instid0(VALU_DEP_1) | instskip(SKIP_1) | instid1(VALU_DEP_1)
	v_fma_f32 v1, -v1, v5, v25
	s_wait_alu depctr_va_vcc(0)
	v_div_fmas_f32 v4, v1, v4, v5
	.loc	1 23 21                         ; rms_norm.py:23:21
	v_ashrrev_i32_e32 v1, 31, v0
	s_delay_alu instid0(VALU_DEP_2) | instskip(NEXT) | instid1(VALU_DEP_2)
	.loc	1 22 16                         ; rms_norm.py:22:16
	v_div_fixup_f32 v4, v4, v8, v16
	.loc	1 23 21                         ; rms_norm.py:23:21
	v_lshlrev_b64_e32 v[0:1], 2, v[0:1]
	s_delay_alu instid0(VALU_DEP_2) | instskip(NEXT) | instid1(VALU_DEP_2)
	.loc	1 22 22                         ; rms_norm.py:22:22
	v_mul_f32_e32 v4, v4, v24
	.loc	1 23 21                         ; rms_norm.py:23:21
	v_add_co_u32 v0, vcc_lo, s14, v0
	s_wait_alu depctr_va_vcc(0)
	s_delay_alu instid0(VALU_DEP_3)
	v_add_co_ci_u32_e64 v1, null, s15, v1, vcc_lo
	.loc	1 23 27 is_stmt 0               ; rms_norm.py:23:27
	global_store_b32 v[0:1], v4, off
.LBB0_61:                               ;   in Loop: Header=BB0_30 Depth=1
	.loc	1 0 27                          ; rms_norm.py:0:27
	s_wait_alu depctr_sa_sdst(0)
	s_or_b32 exec_lo, exec_lo, s7
	.loc	1 23 21                         ; rms_norm.py:23:21
	v_add_co_u32 v0, vcc_lo, s14, v2
	s_wait_alu depctr_va_vcc(0)
	v_add_co_ci_u32_e64 v1, null, s15, v3, vcc_lo
	.loc	1 23 27                         ; rms_norm.py:23:27
	s_and_saveexec_b32 s7, s6
	s_cbranch_execnz .LBB0_71
; %bb.62:                               ;   in Loop: Header=BB0_30 Depth=1
	.loc	1 0 27                          ; rms_norm.py:0:27
	s_wait_alu depctr_sa_sdst(0)
	s_or_b32 exec_lo, exec_lo, s7
	.loc	1 23 27                         ; rms_norm.py:23:27
	s_and_saveexec_b32 s6, s5
	s_cbranch_execnz .LBB0_72
.LBB0_63:                               ;   in Loop: Header=BB0_30 Depth=1
	.loc	1 0 27                          ; rms_norm.py:0:27
	s_wait_alu depctr_sa_sdst(0)
	s_or_b32 exec_lo, exec_lo, s6
	.loc	1 23 27                         ; rms_norm.py:23:27
	s_and_saveexec_b32 s5, s4
	s_cbranch_execnz .LBB0_73
.LBB0_64:                               ;   in Loop: Header=BB0_30 Depth=1
	.loc	1 0 27                          ; rms_norm.py:0:27
	s_or_b32 exec_lo, exec_lo, s5
	.loc	1 23 27                         ; rms_norm.py:23:27
	s_and_saveexec_b32 s4, s3
	s_cbranch_execnz .LBB0_74
.LBB0_65:                               ;   in Loop: Header=BB0_30 Depth=1
	.loc	1 0 27                          ; rms_norm.py:0:27
	s_or_b32 exec_lo, exec_lo, s4
	.loc	1 23 27                         ; rms_norm.py:23:27
	s_and_saveexec_b32 s3, s2
	s_cbranch_execnz .LBB0_75
.LBB0_66:                               ;   in Loop: Header=BB0_30 Depth=1
	.loc	1 0 27                          ; rms_norm.py:0:27
	s_wait_alu depctr_sa_sdst(0)
	s_or_b32 exec_lo, exec_lo, s3
	.loc	1 23 27                         ; rms_norm.py:23:27
	s_and_saveexec_b32 s2, s1
	s_cbranch_execnz .LBB0_76
.LBB0_67:                               ;   in Loop: Header=BB0_30 Depth=1
	.loc	1 0 27                          ; rms_norm.py:0:27
	s_wait_alu depctr_sa_sdst(0)
	s_or_b32 exec_lo, exec_lo, s2
	.loc	1 23 27                         ; rms_norm.py:23:27
	s_and_saveexec_b32 s1, s0
	s_cbranch_execz .LBB0_29
	s_branch .LBB0_77
.LBB0_68:                               ;   in Loop: Header=BB0_30 Depth=1
	.loc	1 21 20 is_stmt 1               ; rms_norm.py:21:20
	global_load_b32 v20, v[4:5], off offset:2560
	s_wait_alu depctr_sa_sdst(0)
	s_or_b32 exec_lo, exec_lo, s7
	s_and_saveexec_b32 s7, s1
	s_cbranch_execz .LBB0_58
.LBB0_69:                               ;   in Loop: Header=BB0_30 Depth=1
	global_load_b32 v17, v[4:5], off offset:3072
	s_wait_alu depctr_sa_sdst(0)
	s_or_b32 exec_lo, exec_lo, s7
	v_mov_b32_e32 v18, 0
	s_and_saveexec_b32 s7, s0
	s_cbranch_execz .LBB0_59
.LBB0_70:                               ;   in Loop: Header=BB0_30 Depth=1
	global_load_b32 v18, v[4:5], off offset:3584
	s_wait_alu depctr_sa_sdst(0)
	s_or_b32 exec_lo, exec_lo, s7
	.loc	1 23 27                         ; rms_norm.py:23:27
	s_and_saveexec_b32 s7, vcc_lo
	s_cbranch_execnz .LBB0_60
	s_branch .LBB0_61
.LBB0_71:                               ;   in Loop: Header=BB0_30 Depth=1
	.loc	1 22 16                         ; rms_norm.py:22:16
	s_wait_loadcnt 0x0
	v_div_scale_f32 v2, null, v8, v8, v15
	s_delay_alu instid0(VALU_DEP_1) | instskip(NEXT) | instid1(TRANS32_DEP_1)
	v_rcp_f32_e32 v3, v2
	v_fma_f32 v4, -v2, v3, 1.0
	s_delay_alu instid0(VALU_DEP_1) | instskip(SKIP_1) | instid1(VALU_DEP_1)
	v_fmac_f32_e32 v3, v4, v3
	v_div_scale_f32 v4, vcc_lo, v15, v8, v15
	v_mul_f32_e32 v5, v4, v3
	s_delay_alu instid0(VALU_DEP_1) | instskip(NEXT) | instid1(VALU_DEP_1)
	v_fma_f32 v16, -v2, v5, v4
	v_fmac_f32_e32 v5, v16, v3
	s_delay_alu instid0(VALU_DEP_1) | instskip(SKIP_1) | instid1(VALU_DEP_1)
	v_fma_f32 v2, -v2, v5, v4
	s_wait_alu depctr_va_vcc(0)
	v_div_fmas_f32 v2, v2, v3, v5
	s_delay_alu instid0(VALU_DEP_1) | instskip(NEXT) | instid1(VALU_DEP_1)
	v_div_fixup_f32 v2, v2, v8, v15
	.loc	1 22 22 is_stmt 0               ; rms_norm.py:22:22
	v_mul_f32_e32 v2, v2, v23
	.loc	1 23 27 is_stmt 1               ; rms_norm.py:23:27
	global_store_b32 v[0:1], v2, off offset:512
	s_wait_alu depctr_sa_sdst(0)
	s_or_b32 exec_lo, exec_lo, s7
	s_and_saveexec_b32 s6, s5
	s_cbranch_execz .LBB0_63
.LBB0_72:                               ;   in Loop: Header=BB0_30 Depth=1
	.loc	1 22 16                         ; rms_norm.py:22:16
	s_wait_loadcnt 0x0
	v_div_scale_f32 v2, null, v8, v8, v13
	s_delay_alu instid0(VALU_DEP_1) | instskip(NEXT) | instid1(TRANS32_DEP_1)
	v_rcp_f32_e32 v3, v2
	v_fma_f32 v4, -v2, v3, 1.0
	s_delay_alu instid0(VALU_DEP_1) | instskip(SKIP_1) | instid1(VALU_DEP_1)
	v_fmac_f32_e32 v3, v4, v3
	v_div_scale_f32 v4, vcc_lo, v13, v8, v13
	v_mul_f32_e32 v5, v4, v3
	s_delay_alu instid0(VALU_DEP_1) | instskip(NEXT) | instid1(VALU_DEP_1)
	v_fma_f32 v15, -v2, v5, v4
	v_fmac_f32_e32 v5, v15, v3
	s_delay_alu instid0(VALU_DEP_1) | instskip(SKIP_1) | instid1(VALU_DEP_1)
	v_fma_f32 v2, -v2, v5, v4
	s_wait_alu depctr_va_vcc(0)
	v_div_fmas_f32 v2, v2, v3, v5
	s_delay_alu instid0(VALU_DEP_1) | instskip(NEXT) | instid1(VALU_DEP_1)
	v_div_fixup_f32 v2, v2, v8, v13
	.loc	1 22 22 is_stmt 0               ; rms_norm.py:22:22
	v_mul_f32_e32 v2, v2, v21
	.loc	1 23 27 is_stmt 1               ; rms_norm.py:23:27
	global_store_b32 v[0:1], v2, off offset:1024
	s_wait_alu depctr_sa_sdst(0)
	s_or_b32 exec_lo, exec_lo, s6
	s_and_saveexec_b32 s5, s4
	s_cbranch_execz .LBB0_64
.LBB0_73:                               ;   in Loop: Header=BB0_30 Depth=1
	.loc	1 22 16                         ; rms_norm.py:22:16
	s_wait_loadcnt 0x0
	v_div_scale_f32 v2, null, v8, v8, v14
	s_delay_alu instid0(VALU_DEP_1) | instskip(NEXT) | instid1(TRANS32_DEP_1)
	v_rcp_f32_e32 v3, v2
	v_fma_f32 v4, -v2, v3, 1.0
	s_delay_alu instid0(VALU_DEP_1) | instskip(SKIP_1) | instid1(VALU_DEP_1)
	v_fmac_f32_e32 v3, v4, v3
	v_div_scale_f32 v4, vcc_lo, v14, v8, v14
	v_mul_f32_e32 v5, v4, v3
	s_delay_alu instid0(VALU_DEP_1) | instskip(NEXT) | instid1(VALU_DEP_1)
	v_fma_f32 v13, -v2, v5, v4
	v_fmac_f32_e32 v5, v13, v3
	s_delay_alu instid0(VALU_DEP_1) | instskip(SKIP_1) | instid1(VALU_DEP_1)
	v_fma_f32 v2, -v2, v5, v4
	s_wait_alu depctr_va_vcc(0)
	v_div_fmas_f32 v2, v2, v3, v5
	s_delay_alu instid0(VALU_DEP_1) | instskip(NEXT) | instid1(VALU_DEP_1)
	v_div_fixup_f32 v2, v2, v8, v14
	.loc	1 22 22 is_stmt 0               ; rms_norm.py:22:22
	v_mul_f32_e32 v2, v2, v22
	.loc	1 23 27 is_stmt 1               ; rms_norm.py:23:27
	global_store_b32 v[0:1], v2, off offset:1536
	s_or_b32 exec_lo, exec_lo, s5
	s_and_saveexec_b32 s4, s3
	s_cbranch_execz .LBB0_65
.LBB0_74:                               ;   in Loop: Header=BB0_30 Depth=1
	.loc	1 22 16                         ; rms_norm.py:22:16
	s_wait_loadcnt 0x0
	v_div_scale_f32 v2, null, v8, v8, v11
	s_delay_alu instid0(VALU_DEP_1) | instskip(NEXT) | instid1(TRANS32_DEP_1)
	v_rcp_f32_e32 v3, v2
	v_fma_f32 v4, -v2, v3, 1.0
	s_delay_alu instid0(VALU_DEP_1) | instskip(SKIP_1) | instid1(VALU_DEP_1)
	v_fmac_f32_e32 v3, v4, v3
	v_div_scale_f32 v4, vcc_lo, v11, v8, v11
	v_mul_f32_e32 v5, v4, v3
	s_delay_alu instid0(VALU_DEP_1) | instskip(NEXT) | instid1(VALU_DEP_1)
	v_fma_f32 v13, -v2, v5, v4
	v_fmac_f32_e32 v5, v13, v3
	s_delay_alu instid0(VALU_DEP_1) | instskip(SKIP_1) | instid1(VALU_DEP_1)
	v_fma_f32 v2, -v2, v5, v4
	s_wait_alu depctr_va_vcc(0)
	v_div_fmas_f32 v2, v2, v3, v5
	s_delay_alu instid0(VALU_DEP_1) | instskip(NEXT) | instid1(VALU_DEP_1)
	v_div_fixup_f32 v2, v2, v8, v11
	.loc	1 22 22 is_stmt 0               ; rms_norm.py:22:22
	v_mul_f32_e32 v2, v2, v19
	.loc	1 23 27 is_stmt 1               ; rms_norm.py:23:27
	global_store_b32 v[0:1], v2, off offset:2048
	s_or_b32 exec_lo, exec_lo, s4
	s_and_saveexec_b32 s3, s2
	s_cbranch_execz .LBB0_66
.LBB0_75:                               ;   in Loop: Header=BB0_30 Depth=1
	.loc	1 22 16                         ; rms_norm.py:22:16
	s_wait_loadcnt 0x0
	v_div_scale_f32 v2, null, v8, v8, v12
	s_delay_alu instid0(VALU_DEP_1) | instskip(NEXT) | instid1(TRANS32_DEP_1)
	v_rcp_f32_e32 v3, v2
	v_fma_f32 v4, -v2, v3, 1.0
	s_delay_alu instid0(VALU_DEP_1) | instskip(SKIP_1) | instid1(VALU_DEP_1)
	v_fmac_f32_e32 v3, v4, v3
	v_div_scale_f32 v4, vcc_lo, v12, v8, v12
	v_mul_f32_e32 v5, v4, v3
	s_delay_alu instid0(VALU_DEP_1) | instskip(NEXT) | instid1(VALU_DEP_1)
	v_fma_f32 v11, -v2, v5, v4
	v_fmac_f32_e32 v5, v11, v3
	s_delay_alu instid0(VALU_DEP_1) | instskip(SKIP_1) | instid1(VALU_DEP_1)
	v_fma_f32 v2, -v2, v5, v4
	s_wait_alu depctr_va_vcc(0)
	v_div_fmas_f32 v2, v2, v3, v5
	s_delay_alu instid0(VALU_DEP_1) | instskip(NEXT) | instid1(VALU_DEP_1)
	v_div_fixup_f32 v2, v2, v8, v12
	.loc	1 22 22 is_stmt 0               ; rms_norm.py:22:22
	v_mul_f32_e32 v2, v2, v20
	.loc	1 23 27 is_stmt 1               ; rms_norm.py:23:27
	global_store_b32 v[0:1], v2, off offset:2560
	s_wait_alu depctr_sa_sdst(0)
	s_or_b32 exec_lo, exec_lo, s3
	s_and_saveexec_b32 s2, s1
	s_cbranch_execz .LBB0_67
.LBB0_76:                               ;   in Loop: Header=BB0_30 Depth=1
	.loc	1 22 16                         ; rms_norm.py:22:16
	s_wait_loadcnt 0x0
	v_div_scale_f32 v2, null, v8, v8, v9
	s_delay_alu instid0(VALU_DEP_1) | instskip(NEXT) | instid1(TRANS32_DEP_1)
	v_rcp_f32_e32 v3, v2
	v_fma_f32 v4, -v2, v3, 1.0
	s_delay_alu instid0(VALU_DEP_1) | instskip(SKIP_1) | instid1(VALU_DEP_1)
	v_fmac_f32_e32 v3, v4, v3
	v_div_scale_f32 v4, vcc_lo, v9, v8, v9
	v_mul_f32_e32 v5, v4, v3
	s_delay_alu instid0(VALU_DEP_1) | instskip(NEXT) | instid1(VALU_DEP_1)
	v_fma_f32 v11, -v2, v5, v4
	v_fmac_f32_e32 v5, v11, v3
	s_delay_alu instid0(VALU_DEP_1) | instskip(SKIP_1) | instid1(VALU_DEP_1)
	v_fma_f32 v2, -v2, v5, v4
	s_wait_alu depctr_va_vcc(0)
	v_div_fmas_f32 v2, v2, v3, v5
	s_delay_alu instid0(VALU_DEP_1) | instskip(NEXT) | instid1(VALU_DEP_1)
	v_div_fixup_f32 v2, v2, v8, v9
	.loc	1 22 22 is_stmt 0               ; rms_norm.py:22:22
	v_mul_f32_e32 v2, v2, v17
	.loc	1 23 27 is_stmt 1               ; rms_norm.py:23:27
	global_store_b32 v[0:1], v2, off offset:3072
	s_wait_alu depctr_sa_sdst(0)
	s_or_b32 exec_lo, exec_lo, s2
	s_and_saveexec_b32 s1, s0
	s_cbranch_execz .LBB0_29
.LBB0_77:                               ;   in Loop: Header=BB0_30 Depth=1
	.loc	1 22 16                         ; rms_norm.py:22:16
	s_wait_loadcnt 0x0
	v_div_scale_f32 v2, null, v8, v8, v10
	s_delay_alu instid0(VALU_DEP_1) | instskip(NEXT) | instid1(TRANS32_DEP_1)
	v_rcp_f32_e32 v3, v2
	v_fma_f32 v4, -v2, v3, 1.0
	s_delay_alu instid0(VALU_DEP_1) | instskip(SKIP_1) | instid1(VALU_DEP_1)
	v_fmac_f32_e32 v3, v4, v3
	v_div_scale_f32 v4, vcc_lo, v10, v8, v10
	v_mul_f32_e32 v5, v4, v3
	s_delay_alu instid0(VALU_DEP_1) | instskip(NEXT) | instid1(VALU_DEP_1)
	v_fma_f32 v9, -v2, v5, v4
	v_fmac_f32_e32 v5, v9, v3
	s_delay_alu instid0(VALU_DEP_1) | instskip(SKIP_1) | instid1(VALU_DEP_1)
	v_fma_f32 v2, -v2, v5, v4
	s_wait_alu depctr_va_vcc(0)
	v_div_fmas_f32 v2, v2, v3, v5
	s_delay_alu instid0(VALU_DEP_1) | instskip(NEXT) | instid1(VALU_DEP_1)
	v_div_fixup_f32 v2, v2, v8, v10
	.loc	1 22 22 is_stmt 0               ; rms_norm.py:22:22
	v_mul_f32_e32 v2, v2, v18
	.loc	1 23 27 is_stmt 1               ; rms_norm.py:23:27
	global_store_b32 v[0:1], v2, off offset:3584
	s_branch .LBB0_29
.LBB0_78:                               ; %._crit_edge5
	.loc	1 17 4                          ; rms_norm.py:17:4
	s_endpgm
.Ltmp17:
	.section	.rodata,"a",@progbits
	.p2align	6, 0x0
	.amdhsa_kernel rms_norm_kernel
		.amdhsa_group_segment_fixed_size 0
		.amdhsa_private_segment_fixed_size 0
		.amdhsa_kernarg_size 56
		.amdhsa_user_sgpr_count 2
		.amdhsa_user_sgpr_dispatch_ptr 0
		.amdhsa_user_sgpr_queue_ptr 0
		.amdhsa_user_sgpr_kernarg_segment_ptr 1
		.amdhsa_user_sgpr_dispatch_id 0
		.amdhsa_user_sgpr_private_segment_size 0
		.amdhsa_wavefront_size32 1
		.amdhsa_uses_dynamic_stack 0
		.amdhsa_enable_private_segment 0
		.amdhsa_system_sgpr_workgroup_id_x 1
		.amdhsa_system_sgpr_workgroup_id_y 1
		.amdhsa_system_sgpr_workgroup_id_z 1
		.amdhsa_system_sgpr_workgroup_info 0
		.amdhsa_system_vgpr_workitem_id 0
		.amdhsa_next_free_vgpr 27
		.amdhsa_next_free_sgpr 17
		.amdhsa_reserve_vcc 1
		.amdhsa_float_round_mode_32 0
		.amdhsa_float_round_mode_16_64 0
		.amdhsa_float_denorm_mode_32 3
		.amdhsa_float_denorm_mode_16_64 3
		.amdhsa_fp16_overflow 0
		.amdhsa_workgroup_processor_mode 1
		.amdhsa_memory_ordered 1
		.amdhsa_forward_progress 1
		.amdhsa_inst_pref_size 27
		.amdhsa_round_robin_scheduling 0
		.amdhsa_exception_fp_ieee_invalid_op 0
		.amdhsa_exception_fp_denorm_src 0
		.amdhsa_exception_fp_ieee_div_zero 0
		.amdhsa_exception_fp_ieee_overflow 0
		.amdhsa_exception_fp_ieee_underflow 0
		.amdhsa_exception_fp_ieee_inexact 0
		.amdhsa_exception_int_div_zero 0
	.end_amdhsa_kernel
	.text
.Lfunc_end0:
	.size	rms_norm_kernel, .Lfunc_end0-rms_norm_kernel
	.cfi_endproc
                                        ; -- End function
	.set rms_norm_kernel.num_vgpr, 27
	.set rms_norm_kernel.num_agpr, 0
	.set rms_norm_kernel.numbered_sgpr, 17
	.set rms_norm_kernel.num_named_barrier, 0
	.set rms_norm_kernel.private_seg_size, 0
	.set rms_norm_kernel.uses_vcc, 1
	.set rms_norm_kernel.uses_flat_scratch, 0
	.set rms_norm_kernel.has_dyn_sized_stack, 0
	.set rms_norm_kernel.has_recursion, 0
	.set rms_norm_kernel.has_indirect_call, 0
	.section	.AMDGPU.csdata,"",@progbits
; Kernel info:
; codeLenInByte = 3344
; TotalNumSgprs: 19
; NumVgprs: 27
; ScratchSize: 0
; MemoryBound: 0
; FloatMode: 240
; IeeeMode: 1
; LDSByteSize: 0 bytes/workgroup (compile time only)
; SGPRBlocks: 0
; VGPRBlocks: 3
; NumSGPRsForWavesPerEU: 19
; NumVGPRsForWavesPerEU: 27
; Occupancy: 16
; WaveLimiterHint : 0
; COMPUTE_PGM_RSRC2:SCRATCH_EN: 0
; COMPUTE_PGM_RSRC2:USER_SGPR: 2
; COMPUTE_PGM_RSRC2:TRAP_HANDLER: 0
; COMPUTE_PGM_RSRC2:TGID_X_EN: 1
; COMPUTE_PGM_RSRC2:TGID_Y_EN: 1
; COMPUTE_PGM_RSRC2:TGID_Z_EN: 1
; COMPUTE_PGM_RSRC2:TIDIG_COMP_CNT: 0
	.text
	.p2alignl 7, 3214868480
	.fill 96, 4, 3214868480
	.section	.AMDGPU.gpr_maximums,"",@progbits
	.set amdgpu.max_num_vgpr, 0
	.set amdgpu.max_num_agpr, 0
	.set amdgpu.max_num_sgpr, 0
	.set amdgpu.max_num_named_barrier, 0
	.text
	.section	.debug_abbrev,"",@progbits
	.byte	1                               ; Abbreviation Code
	.byte	17                              ; DW_TAG_compile_unit
	.byte	1                               ; DW_CHILDREN_yes
	.byte	37                              ; DW_AT_producer
	.byte	14                              ; DW_FORM_strp
	.byte	19                              ; DW_AT_language
	.byte	5                               ; DW_FORM_data2
	.byte	3                               ; DW_AT_name
	.byte	14                              ; DW_FORM_strp
	.byte	16                              ; DW_AT_stmt_list
	.byte	23                              ; DW_FORM_sec_offset
	.byte	27                              ; DW_AT_comp_dir
	.byte	14                              ; DW_FORM_strp
	.byte	17                              ; DW_AT_low_pc
	.byte	1                               ; DW_FORM_addr
	.byte	18                              ; DW_AT_high_pc
	.byte	6                               ; DW_FORM_data4
	.byte	0                               ; EOM(1)
	.byte	0                               ; EOM(2)
	.byte	2                               ; Abbreviation Code
	.byte	46                              ; DW_TAG_subprogram
	.byte	0                               ; DW_CHILDREN_no
	.byte	3                               ; DW_AT_name
	.byte	14                              ; DW_FORM_strp
	.byte	32                              ; DW_AT_inline
	.byte	11                              ; DW_FORM_data1
	.byte	0                               ; EOM(1)
	.byte	0                               ; EOM(2)
	.byte	3                               ; Abbreviation Code
	.byte	46                              ; DW_TAG_subprogram
	.byte	1                               ; DW_CHILDREN_yes
	.byte	17                              ; DW_AT_low_pc
	.byte	1                               ; DW_FORM_addr
	.byte	18                              ; DW_AT_high_pc
	.byte	6                               ; DW_FORM_data4
	.byte	49                              ; DW_AT_abstract_origin
	.byte	19                              ; DW_FORM_ref4
	.byte	0                               ; EOM(1)
	.byte	0                               ; EOM(2)
	.byte	4                               ; Abbreviation Code
	.byte	29                              ; DW_TAG_inlined_subroutine
	.byte	1                               ; DW_CHILDREN_yes
	.byte	49                              ; DW_AT_abstract_origin
	.byte	19                              ; DW_FORM_ref4
	.byte	85                              ; DW_AT_ranges
	.byte	23                              ; DW_FORM_sec_offset
	.byte	88                              ; DW_AT_call_file
	.byte	11                              ; DW_FORM_data1
	.byte	89                              ; DW_AT_call_line
	.byte	11                              ; DW_FORM_data1
	.byte	87                              ; DW_AT_call_column
	.byte	11                              ; DW_FORM_data1
	.byte	0                               ; EOM(1)
	.byte	0                               ; EOM(2)
	.byte	5                               ; Abbreviation Code
	.byte	29                              ; DW_TAG_inlined_subroutine
	.byte	0                               ; DW_CHILDREN_no
	.byte	49                              ; DW_AT_abstract_origin
	.byte	19                              ; DW_FORM_ref4
	.byte	85                              ; DW_AT_ranges
	.byte	23                              ; DW_FORM_sec_offset
	.byte	88                              ; DW_AT_call_file
	.byte	11                              ; DW_FORM_data1
	.byte	89                              ; DW_AT_call_line
	.byte	5                               ; DW_FORM_data2
	.byte	87                              ; DW_AT_call_column
	.byte	11                              ; DW_FORM_data1
	.byte	0                               ; EOM(1)
	.byte	0                               ; EOM(2)
	;; [unrolled: 1-line block ×3, first 2 shown]
	.section	.debug_info,"",@progbits
.Lcu_begin0:
	.long	.Ldebug_info_end0-.Ldebug_info_start0 ; Length of Unit
.Ldebug_info_start0:
	.short	4                               ; DWARF version number
	.long	.debug_abbrev                   ; Offset Into Abbrev. Section
	.byte	8                               ; Address Size (in bytes)
	.byte	1                               ; Abbrev [1] 0xb:0x52 DW_TAG_compile_unit
	.long	.Linfo_string0                  ; DW_AT_producer
	.short	2                               ; DW_AT_language
	.long	.Linfo_string1                  ; DW_AT_name
	.long	.Lline_table_start0             ; DW_AT_stmt_list
	.long	.Linfo_string2                  ; DW_AT_comp_dir
	.quad	.Lfunc_begin0                   ; DW_AT_low_pc
	.long	.Lfunc_end0-.Lfunc_begin0       ; DW_AT_high_pc
	.byte	2                               ; Abbrev [2] 0x2a:0x6 DW_TAG_subprogram
	.long	.Linfo_string3                  ; DW_AT_name
	.byte	1                               ; DW_AT_inline
	.byte	3                               ; Abbrev [3] 0x30:0x2c DW_TAG_subprogram
	.quad	.Lfunc_begin0                   ; DW_AT_low_pc
	.long	.Lfunc_end0-.Lfunc_begin0       ; DW_AT_high_pc
	.long	42                              ; DW_AT_abstract_origin
	.byte	4                               ; Abbrev [4] 0x41:0x1a DW_TAG_inlined_subroutine
	.long	42                              ; DW_AT_abstract_origin
	.long	.Ldebug_ranges0                 ; DW_AT_ranges
	.byte	1                               ; DW_AT_call_file
	.byte	16                              ; DW_AT_call_line
	.byte	25                              ; DW_AT_call_column
	.byte	5                               ; Abbrev [5] 0x4d:0xd DW_TAG_inlined_subroutine
	.long	42                              ; DW_AT_abstract_origin
	.long	.Ldebug_ranges1                 ; DW_AT_ranges
	.byte	2                               ; DW_AT_call_file
	.short	293                             ; DW_AT_call_line
	.byte	36                              ; DW_AT_call_column
	.byte	0                               ; End Of Children Mark
	.byte	0                               ; End Of Children Mark
	.byte	0                               ; End Of Children Mark
.Ldebug_info_end0:
	.section	.debug_ranges,"",@progbits
.Ldebug_ranges0:
	.quad	.Ltmp0-.Lfunc_begin0
	.quad	.Ltmp1-.Lfunc_begin0
	;; [unrolled: 1-line block ×10, first 2 shown]
	.quad	0
	.quad	0
.Ldebug_ranges1:
	.quad	.Ltmp2-.Lfunc_begin0
	.quad	.Ltmp3-.Lfunc_begin0
	;; [unrolled: 1-line block ×8, first 2 shown]
	.quad	0
	.quad	0
	.section	.debug_str,"MS",@progbits,1
.Linfo_string0:
	.asciz	"triton"                        ; string offset=0
.Linfo_string1:
	.asciz	"rms_norm.py"                   ; string offset=7
.Linfo_string2:
	.asciz	"/root/src/amdgpu-assembly/repos/triton-lang__triton-aot" ; string offset=19
.Linfo_string3:
	.asciz	"rms_norm_kernel"               ; string offset=75
	.section	".note.GNU-stack","",@progbits
	.amdgpu_metadata
---
amdhsa.kernels:
  - .args:
      - .address_space:  global
        .offset:         0
        .size:           8
        .value_kind:     global_buffer
      - .address_space:  global
        .offset:         8
        .size:           8
        .value_kind:     global_buffer
      - .address_space:  global
        .offset:         16
        .size:           8
        .value_kind:     global_buffer
      - .offset:         24
        .size:           4
        .value_kind:     by_value
      - .offset:         28
        .size:           4
        .value_kind:     by_value
      - .offset:         32
        .size:           4
        .value_kind:     by_value
      - .address_space:  global
        .offset:         40
        .size:           8
        .value_kind:     global_buffer
      - .address_space:  global
        .offset:         48
        .size:           8
        .value_kind:     global_buffer
    .group_segment_fixed_size: 0
    .kernarg_segment_align: 8
    .kernarg_segment_size: 56
    .max_flat_workgroup_size: 128
    .name:           rms_norm_kernel
    .private_segment_fixed_size: 0
    .sgpr_count:     19
    .sgpr_spill_count: 0
    .symbol:         rms_norm_kernel.kd
    .uniform_work_group_size: 1
    .uses_dynamic_stack: false
    .vgpr_count:     27
    .vgpr_spill_count: 0
    .wavefront_size: 32
    .workgroup_processor_mode: 1
amdhsa.target:   amdgcn-amd-amdhsa--gfx1201
amdhsa.version:
  - 1
  - 2
...

	.end_amdgpu_metadata
	.section	.debug_line,"",@progbits
.Lline_table_start0:
